;; amdgpu-corpus repo=ROCm/rocFFT kind=compiled arch=gfx1201 opt=O3
	.text
	.amdgcn_target "amdgcn-amd-amdhsa--gfx1201"
	.amdhsa_code_object_version 6
	.protected	fft_rtc_back_len1638_factors_13_2_3_7_3_wgs_182_tpt_182_halfLds_half_op_CI_CI_unitstride_sbrr_dirReg ; -- Begin function fft_rtc_back_len1638_factors_13_2_3_7_3_wgs_182_tpt_182_halfLds_half_op_CI_CI_unitstride_sbrr_dirReg
	.globl	fft_rtc_back_len1638_factors_13_2_3_7_3_wgs_182_tpt_182_halfLds_half_op_CI_CI_unitstride_sbrr_dirReg
	.p2align	8
	.type	fft_rtc_back_len1638_factors_13_2_3_7_3_wgs_182_tpt_182_halfLds_half_op_CI_CI_unitstride_sbrr_dirReg,@function
fft_rtc_back_len1638_factors_13_2_3_7_3_wgs_182_tpt_182_halfLds_half_op_CI_CI_unitstride_sbrr_dirReg: ; @fft_rtc_back_len1638_factors_13_2_3_7_3_wgs_182_tpt_182_halfLds_half_op_CI_CI_unitstride_sbrr_dirReg
; %bb.0:
	s_clause 0x2
	s_load_b128 s[8:11], s[0:1], 0x0
	s_load_b128 s[4:7], s[0:1], 0x58
	;; [unrolled: 1-line block ×3, first 2 shown]
	v_mul_u32_u24_e32 v1, 0x169, v0
	v_mov_b32_e32 v5, 0
	v_mov_b32_e32 v7, 0
	;; [unrolled: 1-line block ×3, first 2 shown]
	s_delay_alu instid0(VALU_DEP_4) | instskip(NEXT) | instid1(VALU_DEP_1)
	v_lshrrev_b32_e32 v1, 16, v1
	v_dual_mov_b32 v10, v5 :: v_dual_add_nc_u32 v9, ttmp9, v1
	s_wait_kmcnt 0x0
	v_cmp_lt_u64_e64 s2, s[10:11], 2
	s_delay_alu instid0(VALU_DEP_1)
	s_and_b32 vcc_lo, exec_lo, s2
	s_cbranch_vccnz .LBB0_8
; %bb.1:
	s_load_b64 s[2:3], s[0:1], 0x10
	v_mov_b32_e32 v7, 0
	v_mov_b32_e32 v8, 0
	s_delay_alu instid0(VALU_DEP_2)
	v_mov_b32_e32 v1, v7
	s_add_nc_u64 s[16:17], s[14:15], 8
	s_add_nc_u64 s[18:19], s[12:13], 8
	s_mov_b64 s[20:21], 1
	v_mov_b32_e32 v2, v8
	s_wait_kmcnt 0x0
	s_add_nc_u64 s[22:23], s[2:3], 8
	s_mov_b32 s3, 0
.LBB0_2:                                ; =>This Inner Loop Header: Depth=1
	s_load_b64 s[24:25], s[22:23], 0x0
                                        ; implicit-def: $vgpr3_vgpr4
	s_mov_b32 s2, exec_lo
	s_wait_kmcnt 0x0
	v_or_b32_e32 v6, s25, v10
	s_delay_alu instid0(VALU_DEP_1)
	v_cmpx_ne_u64_e32 0, v[5:6]
	s_wait_alu 0xfffe
	s_xor_b32 s26, exec_lo, s2
	s_cbranch_execz .LBB0_4
; %bb.3:                                ;   in Loop: Header=BB0_2 Depth=1
	s_cvt_f32_u32 s2, s24
	s_cvt_f32_u32 s27, s25
	s_sub_nc_u64 s[30:31], 0, s[24:25]
	s_wait_alu 0xfffe
	s_delay_alu instid0(SALU_CYCLE_1) | instskip(SKIP_1) | instid1(SALU_CYCLE_2)
	s_fmamk_f32 s2, s27, 0x4f800000, s2
	s_wait_alu 0xfffe
	v_s_rcp_f32 s2, s2
	s_delay_alu instid0(TRANS32_DEP_1) | instskip(SKIP_1) | instid1(SALU_CYCLE_2)
	s_mul_f32 s2, s2, 0x5f7ffffc
	s_wait_alu 0xfffe
	s_mul_f32 s27, s2, 0x2f800000
	s_wait_alu 0xfffe
	s_delay_alu instid0(SALU_CYCLE_2) | instskip(SKIP_1) | instid1(SALU_CYCLE_2)
	s_trunc_f32 s27, s27
	s_wait_alu 0xfffe
	s_fmamk_f32 s2, s27, 0xcf800000, s2
	s_cvt_u32_f32 s29, s27
	s_wait_alu 0xfffe
	s_delay_alu instid0(SALU_CYCLE_1) | instskip(SKIP_1) | instid1(SALU_CYCLE_2)
	s_cvt_u32_f32 s28, s2
	s_wait_alu 0xfffe
	s_mul_u64 s[34:35], s[30:31], s[28:29]
	s_wait_alu 0xfffe
	s_mul_hi_u32 s37, s28, s35
	s_mul_i32 s36, s28, s35
	s_mul_hi_u32 s2, s28, s34
	s_mul_i32 s33, s29, s34
	s_wait_alu 0xfffe
	s_add_nc_u64 s[36:37], s[2:3], s[36:37]
	s_mul_hi_u32 s27, s29, s34
	s_mul_hi_u32 s38, s29, s35
	s_add_co_u32 s2, s36, s33
	s_wait_alu 0xfffe
	s_add_co_ci_u32 s2, s37, s27
	s_mul_i32 s34, s29, s35
	s_add_co_ci_u32 s35, s38, 0
	s_wait_alu 0xfffe
	s_add_nc_u64 s[34:35], s[2:3], s[34:35]
	s_wait_alu 0xfffe
	v_add_co_u32 v3, s2, s28, s34
	s_delay_alu instid0(VALU_DEP_1) | instskip(SKIP_1) | instid1(VALU_DEP_1)
	s_cmp_lg_u32 s2, 0
	s_add_co_ci_u32 s29, s29, s35
	v_readfirstlane_b32 s28, v3
	s_wait_alu 0xfffe
	s_delay_alu instid0(VALU_DEP_1)
	s_mul_u64 s[30:31], s[30:31], s[28:29]
	s_wait_alu 0xfffe
	s_mul_hi_u32 s35, s28, s31
	s_mul_i32 s34, s28, s31
	s_mul_hi_u32 s2, s28, s30
	s_mul_i32 s33, s29, s30
	s_wait_alu 0xfffe
	s_add_nc_u64 s[34:35], s[2:3], s[34:35]
	s_mul_hi_u32 s27, s29, s30
	s_mul_hi_u32 s28, s29, s31
	s_wait_alu 0xfffe
	s_add_co_u32 s2, s34, s33
	s_add_co_ci_u32 s2, s35, s27
	s_mul_i32 s30, s29, s31
	s_add_co_ci_u32 s31, s28, 0
	s_wait_alu 0xfffe
	s_add_nc_u64 s[30:31], s[2:3], s[30:31]
	s_wait_alu 0xfffe
	v_add_co_u32 v6, s2, v3, s30
	s_delay_alu instid0(VALU_DEP_1) | instskip(SKIP_1) | instid1(VALU_DEP_1)
	s_cmp_lg_u32 s2, 0
	s_add_co_ci_u32 s2, s29, s31
	v_mul_hi_u32 v15, v9, v6
	s_wait_alu 0xfffe
	v_mad_co_u64_u32 v[3:4], null, v9, s2, 0
	v_mad_co_u64_u32 v[11:12], null, v10, v6, 0
	;; [unrolled: 1-line block ×3, first 2 shown]
	s_delay_alu instid0(VALU_DEP_3) | instskip(SKIP_1) | instid1(VALU_DEP_4)
	v_add_co_u32 v3, vcc_lo, v15, v3
	s_wait_alu 0xfffd
	v_add_co_ci_u32_e32 v4, vcc_lo, 0, v4, vcc_lo
	s_delay_alu instid0(VALU_DEP_2) | instskip(SKIP_1) | instid1(VALU_DEP_2)
	v_add_co_u32 v3, vcc_lo, v3, v11
	s_wait_alu 0xfffd
	v_add_co_ci_u32_e32 v3, vcc_lo, v4, v12, vcc_lo
	s_wait_alu 0xfffd
	v_add_co_ci_u32_e32 v4, vcc_lo, 0, v14, vcc_lo
	s_delay_alu instid0(VALU_DEP_2) | instskip(SKIP_1) | instid1(VALU_DEP_2)
	v_add_co_u32 v6, vcc_lo, v3, v13
	s_wait_alu 0xfffd
	v_add_co_ci_u32_e32 v11, vcc_lo, 0, v4, vcc_lo
	s_delay_alu instid0(VALU_DEP_2) | instskip(SKIP_1) | instid1(VALU_DEP_3)
	v_mul_lo_u32 v12, s25, v6
	v_mad_co_u64_u32 v[3:4], null, s24, v6, 0
	v_mul_lo_u32 v13, s24, v11
	s_delay_alu instid0(VALU_DEP_2) | instskip(NEXT) | instid1(VALU_DEP_2)
	v_sub_co_u32 v3, vcc_lo, v9, v3
	v_add3_u32 v4, v4, v13, v12
	s_delay_alu instid0(VALU_DEP_1) | instskip(SKIP_1) | instid1(VALU_DEP_1)
	v_sub_nc_u32_e32 v12, v10, v4
	s_wait_alu 0xfffd
	v_subrev_co_ci_u32_e64 v12, s2, s25, v12, vcc_lo
	v_add_co_u32 v13, s2, v6, 2
	s_wait_alu 0xf1ff
	v_add_co_ci_u32_e64 v14, s2, 0, v11, s2
	v_sub_co_u32 v15, s2, v3, s24
	v_sub_co_ci_u32_e32 v4, vcc_lo, v10, v4, vcc_lo
	s_wait_alu 0xf1ff
	v_subrev_co_ci_u32_e64 v12, s2, 0, v12, s2
	s_delay_alu instid0(VALU_DEP_3) | instskip(NEXT) | instid1(VALU_DEP_3)
	v_cmp_le_u32_e32 vcc_lo, s24, v15
	v_cmp_eq_u32_e64 s2, s25, v4
	s_wait_alu 0xfffd
	v_cndmask_b32_e64 v15, 0, -1, vcc_lo
	v_cmp_le_u32_e32 vcc_lo, s25, v12
	s_wait_alu 0xfffd
	v_cndmask_b32_e64 v16, 0, -1, vcc_lo
	v_cmp_le_u32_e32 vcc_lo, s24, v3
	;; [unrolled: 3-line block ×3, first 2 shown]
	s_wait_alu 0xfffd
	v_cndmask_b32_e64 v17, 0, -1, vcc_lo
	v_cmp_eq_u32_e32 vcc_lo, s25, v12
	s_wait_alu 0xf1ff
	s_delay_alu instid0(VALU_DEP_2)
	v_cndmask_b32_e64 v3, v17, v3, s2
	s_wait_alu 0xfffd
	v_cndmask_b32_e32 v12, v16, v15, vcc_lo
	v_add_co_u32 v15, vcc_lo, v6, 1
	s_wait_alu 0xfffd
	v_add_co_ci_u32_e32 v16, vcc_lo, 0, v11, vcc_lo
	s_delay_alu instid0(VALU_DEP_3) | instskip(SKIP_2) | instid1(VALU_DEP_3)
	v_cmp_ne_u32_e32 vcc_lo, 0, v12
	s_wait_alu 0xfffd
	v_cndmask_b32_e32 v12, v15, v13, vcc_lo
	v_cndmask_b32_e32 v4, v16, v14, vcc_lo
	v_cmp_ne_u32_e32 vcc_lo, 0, v3
	s_wait_alu 0xfffd
	s_delay_alu instid0(VALU_DEP_3) | instskip(NEXT) | instid1(VALU_DEP_3)
	v_cndmask_b32_e32 v3, v6, v12, vcc_lo
	v_cndmask_b32_e32 v4, v11, v4, vcc_lo
.LBB0_4:                                ;   in Loop: Header=BB0_2 Depth=1
	s_wait_alu 0xfffe
	s_and_not1_saveexec_b32 s2, s26
	s_cbranch_execz .LBB0_6
; %bb.5:                                ;   in Loop: Header=BB0_2 Depth=1
	v_cvt_f32_u32_e32 v3, s24
	s_sub_co_i32 s26, 0, s24
	s_delay_alu instid0(VALU_DEP_1) | instskip(NEXT) | instid1(TRANS32_DEP_1)
	v_rcp_iflag_f32_e32 v3, v3
	v_mul_f32_e32 v3, 0x4f7ffffe, v3
	s_delay_alu instid0(VALU_DEP_1) | instskip(SKIP_1) | instid1(VALU_DEP_1)
	v_cvt_u32_f32_e32 v3, v3
	s_wait_alu 0xfffe
	v_mul_lo_u32 v4, s26, v3
	s_delay_alu instid0(VALU_DEP_1) | instskip(NEXT) | instid1(VALU_DEP_1)
	v_mul_hi_u32 v4, v3, v4
	v_add_nc_u32_e32 v3, v3, v4
	s_delay_alu instid0(VALU_DEP_1) | instskip(NEXT) | instid1(VALU_DEP_1)
	v_mul_hi_u32 v3, v9, v3
	v_mul_lo_u32 v4, v3, s24
	v_add_nc_u32_e32 v6, 1, v3
	s_delay_alu instid0(VALU_DEP_2) | instskip(NEXT) | instid1(VALU_DEP_1)
	v_sub_nc_u32_e32 v4, v9, v4
	v_subrev_nc_u32_e32 v11, s24, v4
	v_cmp_le_u32_e32 vcc_lo, s24, v4
	s_wait_alu 0xfffd
	s_delay_alu instid0(VALU_DEP_2) | instskip(NEXT) | instid1(VALU_DEP_1)
	v_dual_cndmask_b32 v4, v4, v11 :: v_dual_cndmask_b32 v3, v3, v6
	v_cmp_le_u32_e32 vcc_lo, s24, v4
	s_delay_alu instid0(VALU_DEP_2) | instskip(SKIP_1) | instid1(VALU_DEP_1)
	v_add_nc_u32_e32 v6, 1, v3
	s_wait_alu 0xfffd
	v_dual_mov_b32 v4, v5 :: v_dual_cndmask_b32 v3, v3, v6
.LBB0_6:                                ;   in Loop: Header=BB0_2 Depth=1
	s_wait_alu 0xfffe
	s_or_b32 exec_lo, exec_lo, s2
	s_delay_alu instid0(VALU_DEP_1) | instskip(NEXT) | instid1(VALU_DEP_2)
	v_mul_lo_u32 v6, v4, s24
	v_mul_lo_u32 v13, v3, s25
	s_load_b64 s[26:27], s[18:19], 0x0
	v_mad_co_u64_u32 v[11:12], null, v3, s24, 0
	s_load_b64 s[24:25], s[16:17], 0x0
	s_add_nc_u64 s[20:21], s[20:21], 1
	s_add_nc_u64 s[16:17], s[16:17], 8
	s_wait_alu 0xfffe
	v_cmp_ge_u64_e64 s2, s[20:21], s[10:11]
	s_add_nc_u64 s[18:19], s[18:19], 8
	s_add_nc_u64 s[22:23], s[22:23], 8
	v_add3_u32 v6, v12, v13, v6
	v_sub_co_u32 v9, vcc_lo, v9, v11
	s_wait_alu 0xfffd
	s_delay_alu instid0(VALU_DEP_2) | instskip(SKIP_2) | instid1(VALU_DEP_1)
	v_sub_co_ci_u32_e32 v6, vcc_lo, v10, v6, vcc_lo
	s_and_b32 vcc_lo, exec_lo, s2
	s_wait_kmcnt 0x0
	v_mul_lo_u32 v10, s26, v6
	v_mul_lo_u32 v11, s27, v9
	v_mad_co_u64_u32 v[7:8], null, s26, v9, v[7:8]
	v_mul_lo_u32 v6, s24, v6
	v_mul_lo_u32 v12, s25, v9
	v_mad_co_u64_u32 v[1:2], null, s24, v9, v[1:2]
	s_delay_alu instid0(VALU_DEP_4) | instskip(NEXT) | instid1(VALU_DEP_2)
	v_add3_u32 v8, v11, v8, v10
	v_add3_u32 v2, v12, v2, v6
	s_wait_alu 0xfffe
	s_cbranch_vccnz .LBB0_9
; %bb.7:                                ;   in Loop: Header=BB0_2 Depth=1
	v_dual_mov_b32 v10, v4 :: v_dual_mov_b32 v9, v3
	s_branch .LBB0_2
.LBB0_8:
	v_dual_mov_b32 v1, v7 :: v_dual_mov_b32 v2, v8
	v_dual_mov_b32 v3, v9 :: v_dual_mov_b32 v4, v10
.LBB0_9:
	s_load_b64 s[0:1], s[0:1], 0x28
	v_mul_hi_u32 v5, 0x1681682, v0
	v_mov_b32_e32 v13, 0
	v_mov_b32_e32 v11, 0
	s_lshl_b64 s[2:3], s[10:11], 3
                                        ; implicit-def: $vgpr24
                                        ; implicit-def: $vgpr33
                                        ; implicit-def: $vgpr23
                                        ; implicit-def: $vgpr34
                                        ; implicit-def: $vgpr22
                                        ; implicit-def: $vgpr35
                                        ; implicit-def: $vgpr21
                                        ; implicit-def: $vgpr37
                                        ; implicit-def: $vgpr20
                                        ; implicit-def: $vgpr36
                                        ; implicit-def: $vgpr19
                                        ; implicit-def: $vgpr10
                                        ; implicit-def: $vgpr18
                                        ; implicit-def: $vgpr17
                                        ; implicit-def: $vgpr38
                                        ; implicit-def: $vgpr16
                                        ; implicit-def: $vgpr39
                                        ; implicit-def: $vgpr14
                                        ; implicit-def: $vgpr41
                                        ; implicit-def: $vgpr9
                                        ; implicit-def: $vgpr42
                                        ; implicit-def: $vgpr15
                                        ; implicit-def: $vgpr40
	s_delay_alu instid0(VALU_DEP_3) | instskip(NEXT) | instid1(VALU_DEP_1)
	v_mul_u32_u24_e32 v5, 0xb6, v5
	v_sub_nc_u32_e32 v5, v0, v5
	s_wait_kmcnt 0x0
	v_cmp_gt_u64_e32 vcc_lo, s[0:1], v[3:4]
	s_delay_alu instid0(VALU_DEP_2) | instskip(NEXT) | instid1(VALU_DEP_1)
	v_cmp_gt_u32_e64 s0, 0x7e, v5
	s_and_b32 s1, vcc_lo, s0
	s_wait_alu 0xfffe
	s_and_saveexec_b32 s10, s1
	s_cbranch_execz .LBB0_11
; %bb.10:
	s_add_nc_u64 s[12:13], s[12:13], s[2:3]
	v_lshlrev_b64_e32 v[7:8], 2, v[7:8]
	s_load_b64 s[12:13], s[12:13], 0x0
	s_wait_kmcnt 0x0
	v_mul_lo_u32 v0, s13, v3
	v_mul_lo_u32 v6, s12, v4
	v_mad_co_u64_u32 v[9:10], null, s12, v3, 0
	s_delay_alu instid0(VALU_DEP_1) | instskip(SKIP_1) | instid1(VALU_DEP_2)
	v_add3_u32 v10, v10, v6, v0
	v_mov_b32_e32 v6, 0
	v_lshlrev_b64_e32 v[9:10], 2, v[9:10]
	s_delay_alu instid0(VALU_DEP_1) | instskip(SKIP_1) | instid1(VALU_DEP_2)
	v_add_co_u32 v0, s1, s4, v9
	s_wait_alu 0xf1ff
	v_add_co_ci_u32_e64 v11, s1, s5, v10, s1
	v_lshlrev_b64_e32 v[9:10], 2, v[5:6]
	s_delay_alu instid0(VALU_DEP_3) | instskip(SKIP_1) | instid1(VALU_DEP_3)
	v_add_co_u32 v0, s1, v0, v7
	s_wait_alu 0xf1ff
	v_add_co_ci_u32_e64 v7, s1, v11, v8, s1
	s_delay_alu instid0(VALU_DEP_2) | instskip(SKIP_1) | instid1(VALU_DEP_2)
	v_add_co_u32 v6, s1, v0, v9
	s_wait_alu 0xf1ff
	v_add_co_ci_u32_e64 v7, s1, v7, v10, s1
	s_clause 0xc
	global_load_b32 v0, v[6:7], off
	global_load_b32 v33, v[6:7], off offset:504
	global_load_b32 v34, v[6:7], off offset:1008
	;; [unrolled: 1-line block ×12, first 2 shown]
	s_wait_loadcnt 0xc
	v_lshrrev_b32_e32 v13, 16, v0
	s_wait_loadcnt 0xb
	v_lshrrev_b32_e32 v24, 16, v33
	;; [unrolled: 2-line block ×13, first 2 shown]
	v_perm_b32 v11, v0, v8, 0x5040100
.LBB0_11:
	s_wait_alu 0xfffe
	s_or_b32 exec_lo, exec_lo, s10
	s_delay_alu instid0(VALU_DEP_2)
	v_sub_f16_e32 v52, v24, v9
	v_add_f16_e32 v60, v33, v42
	v_sub_f16_e32 v53, v23, v14
	v_lshrrev_b32_e32 v51, 16, v11
	v_add_f16_e32 v61, v34, v41
	v_mul_f16_e32 v26, 0xbbf1, v52
	v_sub_f16_e32 v54, v22, v15
	v_mul_f16_e32 v27, 0xb3a8, v53
	v_add_f16_e32 v58, v35, v40
	v_sub_f16_e32 v55, v21, v16
	v_fma_f16 v0, v60, 0x2fb7, -v26
	v_mul_f16_e32 v25, 0x3b7b, v54
	v_fma_f16 v6, v61, 0xbbc4, -v27
	v_add_f16_e32 v57, v37, v39
	v_pk_mul_f16 v43, 0xb770ba95, v52 op_sel_hi:[1,0]
	v_add_f16_e32 v7, v51, v0
	v_mul_f16_e32 v0, 0x3770, v55
	v_fma_f16 v12, v58, 0xb5ac, -v25
	v_sub_f16_e32 v56, v20, v17
	v_pk_mul_f16 v30, 0xba95bb7b, v53 op_sel_hi:[1,0]
	v_add_f16_e32 v6, v6, v7
	v_fma_f16 v7, v57, 0x3b15, -v0
	v_pk_fma_f16 v28, 0x3b15388b, v60, v43 op_sel_hi:[1,0,1] neg_lo:[0,0,1] neg_hi:[0,0,1]
	v_pk_mul_f16 v29, 0xbb7bb94e, v52 op_sel_hi:[1,0]
	v_add_f16_e32 v59, v36, v38
	v_add_f16_e32 v6, v6, v12
	v_mul_f16_e32 v8, 0xba95, v56
	v_pk_fma_f16 v44, 0x388bb5ac, v61, v30 op_sel_hi:[1,0,1] neg_lo:[0,0,1] neg_hi:[0,0,1]
	v_pk_add_f16 v28, v11, v28 op_sel:[1,0]
	v_pk_mul_f16 v32, 0x394e3bf1, v53 op_sel_hi:[1,0]
	v_add_f16_e32 v6, v7, v6
	v_pk_fma_f16 v7, 0xb5acb9fd, v60, v29 op_sel_hi:[1,0,1] neg_lo:[0,0,1] neg_hi:[0,0,1]
	v_fma_f16 v12, v59, 0x388b, -v8
	v_pk_mul_f16 v31, 0xbbf1b3a8, v54 op_sel_hi:[1,0]
	v_pk_add_f16 v45, v44, v28
	v_pk_fma_f16 v46, 0xb9fd2fb7, v61, v32 op_sel_hi:[1,0,1] neg_lo:[0,0,1] neg_hi:[0,0,1]
	v_pk_add_f16 v7, v11, v7 op_sel:[1,0]
	v_pk_mul_f16 v44, 0x3770ba95, v54 op_sel_hi:[1,0]
	v_add_f16_e32 v12, v12, v6
	v_pk_fma_f16 v6, 0x2fb7bbc4, v58, v31 op_sel_hi:[1,0,1] neg_lo:[0,0,1] neg_hi:[0,0,1]
	v_pk_mul_f16 v28, 0xbb7b394e, v55 op_sel_hi:[1,0]
	v_pk_add_f16 v7, v46, v7
	v_pk_fma_f16 v46, 0x3b15388b, v58, v44 op_sel_hi:[1,0,1] neg_lo:[0,0,1] neg_hi:[0,0,1]
	v_pk_mul_f16 v47, 0xbbf133a8, v55 op_sel_hi:[1,0]
	v_pk_add_f16 v6, v45, v6
	v_pk_fma_f16 v48, 0xb5acb9fd, v57, v28 op_sel_hi:[1,0,1] neg_lo:[0,0,1] neg_hi:[0,0,1]
	v_sub_f16_e32 v63, v19, v18
	v_pk_mul_f16 v45, 0xb94e3bf1, v56 op_sel_hi:[1,0]
	v_pk_add_f16 v7, v7, v46
	v_pk_fma_f16 v50, 0x2fb7bbc4, v57, v47 op_sel_hi:[1,0,1] neg_lo:[0,0,1] neg_hi:[0,0,1]
	v_pk_mul_f16 v49, 0x33a83770, v56 op_sel_hi:[1,0]
	v_add_f16_e32 v62, v10, v11
	v_pk_add_f16 v6, v48, v6
	v_pk_fma_f16 v64, 0xb9fd2fb7, v59, v45 op_sel_hi:[1,0,1] neg_lo:[0,0,1] neg_hi:[0,0,1]
	v_pk_mul_f16 v46, 0xb3a83770, v63 op_sel_hi:[1,0]
	v_mul_f16_e32 v48, 0xb94e, v63
	v_pk_add_f16 v7, v50, v7
	v_pk_fma_f16 v65, 0xbbc43b15, v59, v49 op_sel_hi:[1,0,1] neg_lo:[0,0,1] neg_hi:[0,0,1]
	v_pk_mul_f16 v50, 0x3a95bb7b, v63 op_sel_hi:[1,0]
	v_pk_add_f16 v6, v64, v6
	v_pk_fma_f16 v64, 0xbbc43b15, v62, v46 op_sel_hi:[1,0,1] neg_lo:[0,0,1] neg_hi:[0,0,1]
	v_fma_f16 v66, v62, 0xb9fd, -v48
	v_pk_add_f16 v65, v65, v7
	v_pk_fma_f16 v67, 0x388bb5ac, v62, v50 op_sel_hi:[1,0,1] neg_lo:[0,0,1] neg_hi:[0,0,1]
	s_delay_alu instid0(VALU_DEP_4) | instskip(NEXT) | instid1(VALU_DEP_4)
	v_pk_add_f16 v6, v64, v6
	v_add_f16_e32 v7, v66, v12
	s_delay_alu instid0(VALU_DEP_3)
	v_pk_add_f16 v12, v67, v65
	s_and_saveexec_b32 s1, s0
	s_cbranch_execz .LBB0_13
; %bb.12:
	v_mul_f16_e32 v74, 0xbbc4, v60
	v_mul_f16_e32 v65, 0xbbc4, v61
	v_pk_mul_f16 v71, 0x388bb5ac, v61 op_sel_hi:[1,0]
	v_pk_mul_f16 v79, 0xb9fd2fb7, v61 op_sel_hi:[1,0]
	v_mul_f16_e32 v61, 0x3b15, v61
	v_fmamk_f16 v78, v52, 0x33a8, v74
	v_add_f16_e32 v82, v51, v33
	v_mul_f16_e32 v66, 0xb5ac, v58
	v_pk_mul_f16 v72, 0x2fb7bbc4, v58 op_sel_hi:[1,0]
	v_pk_mul_f16 v80, 0x3b15388b, v58 op_sel_hi:[1,0]
	v_add_f16_e32 v78, v51, v78
	v_fmamk_f16 v83, v53, 0xb770, v61
	v_mul_f16_e32 v58, 0xb9fd, v58
	v_fmac_f16_e32 v74, 0xb3a8, v52
	v_add_f16_e32 v52, v82, v34
	v_mul_f16_e32 v67, 0x3b15, v57
	v_pk_mul_f16 v73, 0xb5acb9fd, v57 op_sel_hi:[1,0]
	v_pk_mul_f16 v81, 0x2fb7bbc4, v57 op_sel_hi:[1,0]
	v_add_f16_e32 v78, v83, v78
	v_fmamk_f16 v82, v54, 0x394e, v58
	v_mul_f16_e32 v57, 0x388b, v57
	v_add_f16_e32 v52, v52, v35
	v_mul_f16_e32 v68, 0x388b, v59
	v_pk_mul_f16 v75, 0xb9fd2fb7, v59 op_sel_hi:[1,0]
	v_pk_mul_f16 v84, 0xbbc43b15, v59 op_sel_hi:[1,0]
	v_add_f16_e32 v51, v51, v74
	v_fmac_f16_e32 v61, 0x3770, v53
	v_add_f16_e32 v53, v78, v82
	v_fmamk_f16 v74, v55, 0xba95, v57
	v_mul_f16_e32 v59, 0xb5ac, v59
	v_add_f16_e32 v52, v52, v37
	v_mul_f16_e32 v64, 0x2fb7, v60
	v_pk_mul_f16 v69, 0x3b15388b, v60 op_sel_hi:[1,0]
	v_fmac_f16_e32 v58, 0xb94e, v54
	v_add_f16_e32 v53, v74, v53
	v_fmamk_f16 v54, v56, 0x3b7b, v59
	v_add_f16_e32 v52, v52, v36
	v_pk_mul_f16 v60, 0xb5acb9fd, v60 op_sel_hi:[1,0]
	v_add_f16_e32 v51, v61, v51
	v_mul_f16_e32 v61, 0x2fb7, v62
	v_add_f16_e32 v53, v54, v53
	v_bfi_b32 v52, 0xffff, v52, v43
	v_bfi_b32 v54, 0xffff, v10, v69
	v_perm_b32 v26, v26, v43, 0x5040100
	v_perm_b32 v43, v64, v69, 0x5040100
	;; [unrolled: 1-line block ×3, first 2 shown]
	v_fmac_f16_e32 v57, 0x3a95, v55
	v_fmamk_f16 v55, v63, 0xbbf1, v61
	v_pk_add_f16 v52, v52, v54
	v_pk_add_f16 v54, v30, v71
	;; [unrolled: 1-line block ×3, first 2 shown]
	v_perm_b32 v27, v27, v30, 0x5040100
	v_perm_b32 v30, v65, v71, 0x5040100
	v_pk_add_f16 v29, v29, v60
	v_add_f16_e32 v53, v55, v53
	v_pk_add_f16 v55, v31, v72
	v_pk_add_f16 v26, v70, v26
	;; [unrolled: 1-line block ×3, first 2 shown]
	v_perm_b32 v25, v25, v31, 0x5040100
	v_perm_b32 v30, v66, v72, 0x5040100
	v_pk_add_f16 v29, v70, v29
	v_pk_add_f16 v31, v32, v79
	v_add_f16_e32 v51, v51, v58
	v_pk_add_f16 v52, v52, v11
	v_bfi_b32 v54, 0xffff, v38, v54
	v_pk_add_f16 v26, v27, v26
	v_pk_add_f16 v25, v25, v30
	;; [unrolled: 1-line block ×4, first 2 shown]
	v_add_f16_e32 v51, v57, v51
	v_pk_add_f16 v57, v28, v73
	v_pk_add_f16 v52, v52, v54
	v_bfi_b32 v54, 0xffff, v39, v55
	v_perm_b32 v0, v0, v28, 0x5040100
	v_perm_b32 v28, v67, v73, 0x5040100
	v_pk_add_f16 v25, v26, v25
	v_pk_add_f16 v26, v27, v29
	;; [unrolled: 1-line block ×3, first 2 shown]
	v_pk_mul_f16 v76, 0xbbc43b15, v62 op_sel_hi:[1,0]
	v_mul_f16_e32 v77, 0xb9fd, v62
	v_fmac_f16_e32 v59, 0xbb7b, v56
	v_pk_mul_f16 v56, 0x388bb5ac, v62 op_sel_hi:[1,0]
	v_pk_add_f16 v55, v45, v75
	v_pk_add_f16 v43, v52, v54
	v_bfi_b32 v52, 0xffff, v40, v57
	v_pk_add_f16 v0, v0, v28
	v_perm_b32 v8, v8, v45, 0x5040100
	v_perm_b32 v28, v68, v75, 0x5040100
	v_pk_add_f16 v26, v27, v26
	v_pk_add_f16 v27, v49, v84
	v_add_f16_e32 v51, v59, v51
	v_fmac_f16_e32 v61, 0x3bf1, v63
	v_pk_add_f16 v32, v46, v76
	v_pk_add_f16 v43, v43, v52
	v_bfi_b32 v30, 0xffff, v41, v55
	v_pk_add_f16 v0, v0, v25
	v_pk_add_f16 v8, v8, v28
	v_perm_b32 v25, v48, v46, 0x5040100
	v_perm_b32 v28, v77, v76, 0x5040100
	v_pk_add_f16 v26, v27, v26
	v_pk_add_f16 v27, v50, v56
	v_pk_add_f16 v29, v30, v43
	v_bfi_b32 v30, 0xffff, v42, v32
	v_pk_add_f16 v0, v8, v0
	v_pk_add_f16 v8, v25, v28
	v_add_f16_e32 v28, v61, v51
	v_pk_add_f16 v27, v27, v26
	v_mad_u32_u24 v31, v5, 26, 0
	v_pk_add_f16 v25, v30, v29
	v_pk_add_f16 v26, v8, v0
	v_pack_b32_f16 v28, v28, v53
	v_alignbit_b32 v27, v27, v27, 16
	ds_store_b128 v31, v[25:28]
	ds_store_b32 v31, v12 offset:16
	ds_store_b16 v31, v7 offset:20
	ds_store_b32 v31, v6 offset:22
.LBB0_13:
	s_wait_alu 0xfffe
	s_or_b32 exec_lo, exec_lo, s1
	v_lshl_add_u32 v0, v5, 1, 0
	global_wb scope:SCOPE_SE
	s_wait_dscnt 0x0
	s_barrier_signal -1
	s_barrier_wait -1
	global_inv scope:SCOPE_SE
	ds_load_u16 v29, v0
	ds_load_u16 v30, v0 offset:364
	ds_load_u16 v31, v0 offset:728
	;; [unrolled: 1-line block ×7, first 2 shown]
	v_cmp_gt_u32_e64 s1, 0x5b, v5
	s_delay_alu instid0(VALU_DEP_1)
	s_and_saveexec_b32 s4, s1
	s_cbranch_execz .LBB0_15
; %bb.14:
	ds_load_u16 v12, v0 offset:1456
	s_wait_dscnt 0x0
	ds_load_u16_d16_hi v12, v0 offset:3094
.LBB0_15:
	s_wait_alu 0xfffe
	s_or_b32 exec_lo, exec_lo, s4
	v_sub_f16_e32 v62, v33, v42
	v_add_f16_e32 v43, v24, v9
	v_sub_f16_e32 v59, v34, v41
	v_add_f16_e32 v45, v23, v14
	v_sub_f16_e32 v60, v35, v40
	v_mul_f16_e32 v41, 0xbbf1, v62
	v_sub_f16_e32 v58, v37, v39
	v_mul_f16_e32 v37, 0xb3a8, v59
	v_add_f16_e32 v46, v22, v15
	v_sub_f16_e32 v61, v36, v38
	v_fmamk_f16 v8, v43, 0x2fb7, v41
	v_mul_f16_e32 v35, 0x3b7b, v60
	v_fmamk_f16 v33, v45, 0xbbc4, v37
	v_add_f16_e32 v40, v21, v16
	v_mul_f16_e32 v34, 0x3770, v58
	v_add_f16_e32 v36, v13, v8
	v_pk_mul_f16 v57, 0xb770ba95, v62 op_sel_hi:[1,0]
	v_fmamk_f16 v38, v46, 0xb5ac, v35
	v_add_f16_e32 v39, v20, v17
	v_mul_f16_e32 v8, 0xba95, v61
	v_add_f16_e32 v33, v33, v36
	v_pk_mul_f16 v56, 0xba95bb7b, v59 op_sel_hi:[1,0]
	v_fmamk_f16 v36, v40, 0x3b15, v34
	v_pk_fma_f16 v42, 0x3b15388b, v43, v57 op_sel_hi:[1,0,1]
	v_pk_mul_f16 v49, 0xbb7bb94e, v62 op_sel_hi:[1,0]
	v_add_f16_e32 v33, v33, v38
	v_pk_mul_f16 v54, 0xbbf1b3a8, v60 op_sel_hi:[1,0]
	v_fmamk_f16 v38, v39, 0x388b, v8
	v_pk_fma_f16 v44, 0x388bb5ac, v45, v56 op_sel_hi:[1,0,1]
	v_pk_add_f16 v42, v13, v42 op_sel_hi:[0,1]
	v_add_f16_e32 v33, v36, v33
	v_pk_mul_f16 v50, 0x394e3bf1, v59 op_sel_hi:[1,0]
	v_pk_fma_f16 v36, 0xb5acb9fd, v43, v49 op_sel_hi:[1,0,1]
	v_pk_fma_f16 v47, 0x2fb7bbc4, v46, v54 op_sel_hi:[1,0,1]
	v_pk_add_f16 v42, v44, v42
	v_add_f16_e32 v33, v38, v33
	v_pk_mul_f16 v55, 0xbb7b394e, v58 op_sel_hi:[1,0]
	v_pk_add_f16 v38, v13, v36 op_sel_hi:[0,1]
	v_pk_fma_f16 v44, 0xb9fd2fb7, v45, v50 op_sel_hi:[1,0,1]
	v_pk_mul_f16 v52, 0x3770ba95, v60 op_sel_hi:[1,0]
	v_pk_add_f16 v42, v42, v47
	v_pk_fma_f16 v47, 0xb5acb9fd, v40, v55 op_sel_hi:[1,0,1]
	v_pk_mul_f16 v51, 0xbbf133a8, v58 op_sel_hi:[1,0]
	v_pk_add_f16 v44, v44, v38
	v_pk_fma_f16 v48, 0x3b15388b, v46, v52 op_sel_hi:[1,0,1]
	v_sub_f16_e32 v38, v10, v11
	v_pk_mul_f16 v53, 0xb94e3bf1, v61 op_sel_hi:[1,0]
	v_pk_add_f16 v10, v47, v42
	v_pk_fma_f16 v42, 0x2fb7bbc4, v40, v51 op_sel_hi:[1,0,1]
	v_pk_add_f16 v11, v44, v48
	v_pk_mul_f16 v48, 0x33a83770, v61 op_sel_hi:[1,0]
	v_add_f16_e32 v36, v19, v18
	v_pk_fma_f16 v63, 0xb9fd2fb7, v39, v53 op_sel_hi:[1,0,1]
	v_pk_mul_f16 v44, 0xb3a83770, v38 op_sel_hi:[1,0]
	v_mul_f16_e32 v47, 0xb94e, v38
	v_pk_add_f16 v11, v42, v11
	v_pk_fma_f16 v64, 0xbbc43b15, v39, v48 op_sel_hi:[1,0,1]
	v_pk_mul_f16 v42, 0x3a95bb7b, v38 op_sel_hi:[1,0]
	v_pk_add_f16 v10, v63, v10
	v_pk_fma_f16 v63, 0xbbc43b15, v36, v44 op_sel_hi:[1,0,1]
	v_fmamk_f16 v65, v36, 0xb9fd, v47
	v_pk_add_f16 v64, v64, v11
	v_pk_fma_f16 v66, 0x388bb5ac, v36, v42 op_sel_hi:[1,0,1]
	global_wb scope:SCOPE_SE
	s_wait_dscnt 0x0
	v_pk_add_f16 v10, v63, v10
	v_add_f16_e32 v11, v65, v33
	s_barrier_signal -1
	v_pk_add_f16 v33, v66, v64
	s_barrier_wait -1
	global_inv scope:SCOPE_SE
	s_and_saveexec_b32 s4, s0
	s_cbranch_execz .LBB0_17
; %bb.16:
	v_add_f16_e32 v24, v13, v24
	v_mul_f16_e32 v62, 0xb3a8, v62
	v_mul_f16_e32 v63, 0x2fb7, v43
	;; [unrolled: 1-line block ×3, first 2 shown]
	v_pk_mul_f16 v67, 0x3b15388b, v43 op_sel_hi:[1,0]
	v_add_f16_e32 v23, v24, v23
	v_pk_mul_f16 v69, 0x388bb5ac, v45 op_sel_hi:[1,0]
	v_pk_mul_f16 v73, 0xb5acb9fd, v43 op_sel_hi:[1,0]
	;; [unrolled: 1-line block ×3, first 2 shown]
	v_perm_b32 v68, v13, v13, 0x5040100
	v_add_f16_e32 v22, v23, v22
	v_mul_f16_e32 v58, 0x3a95, v58
	v_pk_mul_f16 v23, 0x2fb7bbc4, v46 op_sel_hi:[1,0]
	v_mul_f16_e32 v65, 0xb5ac, v46
	v_pk_mul_f16 v75, 0x3b15388b, v46 op_sel_hi:[1,0]
	v_add_f16_e32 v21, v22, v21
	v_mul_f16_e32 v66, 0x3b15, v40
	v_bfi_b32 v35, 0xffff, v35, v52
	v_mul_f16_e32 v24, 0x388b, v39
	v_pk_mul_f16 v70, 0xb5acb9fd, v40 op_sel_hi:[1,0]
	v_add_f16_e32 v20, v21, v20
	v_pk_mul_f16 v21, 0x2fb7bbc4, v40 op_sel_hi:[1,0]
	v_pk_mul_f16 v76, 0xbbc43b15, v39 op_sel_hi:[1,0]
	v_bfi_b32 v34, 0xffff, v34, v51
	v_pk_mul_f16 v71, 0xb9fd2fb7, v39 op_sel_hi:[1,0]
	v_add_f16_e32 v19, v20, v19
	v_mul_f16_e32 v20, 0x3770, v59
	v_mul_f16_e32 v59, 0xb94e, v60
	;; [unrolled: 1-line block ×4, first 2 shown]
	v_add_f16_e32 v18, v19, v18
	v_fma_f16 v19, v43, 0xbbc4, -v62
	v_fmac_f16_e32 v62, 0xbbc4, v43
	v_fma_f16 v43, v45, 0x3b15, -v20
	v_fmac_f16_e32 v20, 0x3b15, v45
	v_add_f16_e32 v17, v18, v17
	v_add_f16_e32 v19, v13, v19
	;; [unrolled: 1-line block ×3, first 2 shown]
	v_fma_f16 v18, v46, 0xb9fd, -v59
	v_fmac_f16_e32 v59, 0xb9fd, v46
	v_add_f16_e32 v16, v17, v16
	v_add_f16_e32 v19, v43, v19
	;; [unrolled: 1-line block ×3, first 2 shown]
	v_pk_add_f16 v43, v67, v57 neg_lo:[0,1] neg_hi:[0,1]
	v_fma_f16 v17, v40, 0x388b, -v58
	v_add_f16_e32 v15, v16, v15
	v_fmac_f16_e32 v58, 0x388b, v40
	v_add_f16_e32 v16, v19, v18
	v_add_f16_e32 v18, v20, v59
	v_pk_add_f16 v19, v68, v43
	v_add_f16_e32 v14, v14, v15
	v_pk_add_f16 v15, v69, v56 neg_lo:[0,1] neg_hi:[0,1]
	v_add_f16_e32 v16, v17, v16
	v_add_f16_e32 v17, v58, v18
	v_fma_f16 v18, v39, 0xb5ac, -v60
	v_bfi_b32 v20, 0xffff, v63, v73
	v_pk_add_f16 v15, v15, v19
	v_pk_add_f16 v19, v23, v54 neg_lo:[0,1] neg_hi:[0,1]
	v_bfi_b32 v23, 0xffff, v41, v49
	v_add_f16_e32 v16, v18, v16
	v_sub_f16_e32 v18, v73, v49
	v_pk_mul_f16 v77, 0x388bb5ac, v36 op_sel_hi:[1,0]
	v_pk_add_f16 v15, v15, v19
	v_pk_add_f16 v19, v20, v23 neg_lo:[0,1] neg_hi:[0,1]
	v_bfi_b32 v20, 0xffff, v64, v74
	v_bfi_b32 v23, 0xffff, v37, v50
	v_add_f16_e32 v13, v13, v18
	v_sub_f16_e32 v18, v74, v50
	v_pk_add_f16 v19, v68, v19
	v_pk_add_f16 v37, v70, v55 neg_lo:[0,1] neg_hi:[0,1]
	v_pk_add_f16 v20, v20, v23 neg_lo:[0,1] neg_hi:[0,1]
	v_bfi_b32 v23, 0xffff, v65, v75
	v_add_f16_e32 v13, v18, v13
	v_sub_f16_e32 v18, v75, v52
	v_bfi_b32 v8, 0xffff, v8, v48
	v_pk_add_f16 v19, v20, v19
	v_pk_add_f16 v20, v23, v35 neg_lo:[0,1] neg_hi:[0,1]
	v_bfi_b32 v23, 0xffff, v66, v21
	v_add_f16_e32 v13, v13, v18
	v_sub_f16_e32 v18, v21, v51
	v_bfi_b32 v21, 0xffff, v24, v76
	v_pk_add_f16 v19, v19, v20
	v_pk_add_f16 v20, v23, v34 neg_lo:[0,1] neg_hi:[0,1]
	v_pk_mul_f16 v72, 0xbbc43b15, v36 op_sel_hi:[1,0]
	v_fmac_f16_e32 v60, 0xb5ac, v39
	v_pk_add_f16 v15, v37, v15
	v_pk_add_f16 v35, v71, v53 neg_lo:[0,1] neg_hi:[0,1]
	v_add_f16_e32 v13, v18, v13
	v_sub_f16_e32 v18, v76, v48
	v_pk_add_f16 v19, v20, v19
	v_pk_add_f16 v8, v21, v8 neg_lo:[0,1] neg_hi:[0,1]
	v_bfi_b32 v20, 0xffff, v22, v77
	v_bfi_b32 v21, 0xffff, v47, v42
	v_mul_f16_e32 v23, 0x3bf1, v38
	v_add_f16_e32 v17, v60, v17
	v_pk_add_f16 v15, v35, v15
	v_pk_add_f16 v22, v72, v44 neg_lo:[0,1] neg_hi:[0,1]
	v_add_f16_e32 v13, v18, v13
	v_pk_add_f16 v8, v8, v19
	v_pk_add_f16 v18, v20, v21 neg_lo:[0,1] neg_hi:[0,1]
	v_sub_f16_e32 v19, v77, v42
	v_fma_f16 v20, v36, 0x2fb7, -v23
	v_fmac_f16_e32 v23, 0x2fb7, v36
	v_pk_add_f16 v21, v22, v15
	v_pk_add_f16 v8, v18, v8
	v_add_f16_e32 v13, v19, v13
	v_add_f16_e32 v16, v20, v16
	;; [unrolled: 1-line block ×4, first 2 shown]
	v_mad_u32_u24 v18, v5, 24, v0
	v_alignbit_b32 v15, v13, v8, 16
	v_pack_b32_f16 v14, v21, v8
	v_pack_b32_f16 v16, v16, v17
	v_bfi_b32 v13, 0xffff, v9, v21
	ds_store_b128 v18, v[13:16]
	ds_store_b32 v18, v33 offset:16
	ds_store_b16 v18, v11 offset:20
	ds_store_b32 v18, v10 offset:22
.LBB0_17:
	s_wait_alu 0xfffe
	s_or_b32 exec_lo, exec_lo, s4
	global_wb scope:SCOPE_SE
	s_wait_dscnt 0x0
	s_barrier_signal -1
	s_barrier_wait -1
	global_inv scope:SCOPE_SE
	ds_load_u16 v14, v0
	ds_load_u16 v16, v0 offset:364
	ds_load_u16 v17, v0 offset:728
	;; [unrolled: 1-line block ×7, first 2 shown]
	s_add_nc_u64 s[2:3], s[14:15], s[2:3]
	s_and_saveexec_b32 s0, s1
	s_cbranch_execz .LBB0_19
; %bb.18:
	ds_load_u16 v33, v0 offset:1456
	s_wait_dscnt 0x0
	ds_load_u16_d16_hi v33, v0 offset:3094
.LBB0_19:
	s_wait_alu 0xfffe
	s_or_b32 exec_lo, exec_lo, s0
	v_add_nc_u32_e32 v9, 0xb6, v5
	v_add_nc_u32_e32 v8, 0x16c, v5
	;; [unrolled: 1-line block ×3, first 2 shown]
	v_and_b32_e32 v15, 0xff, v5
	v_add_nc_u32_e32 v34, 0x2d8, v5
	v_and_b32_e32 v21, 0xffff, v9
	v_and_b32_e32 v35, 0xffff, v8
	;; [unrolled: 1-line block ×3, first 2 shown]
	v_mul_lo_u16 v22, 0x4f, v15
	v_and_b32_e32 v37, 0xffff, v34
	v_mul_u32_u24_e32 v21, 0x4ec5, v21
	v_mul_u32_u24_e32 v15, 0x4ec5, v35
	;; [unrolled: 1-line block ×3, first 2 shown]
	v_lshrrev_b16 v36, 10, v22
	v_mul_u32_u24_e32 v37, 0x4ec5, v37
	v_lshrrev_b32_e32 v42, 18, v21
	v_lshrrev_b32_e32 v43, 18, v15
	;; [unrolled: 1-line block ×3, first 2 shown]
	v_mul_lo_u16 v38, v36, 13
	v_lshrrev_b32_e32 v44, 18, v37
	v_mul_lo_u16 v37, v42, 13
	v_mul_lo_u16 v39, v43, 13
	;; [unrolled: 1-line block ×3, first 2 shown]
	v_sub_nc_u16 v38, v5, v38
	v_mul_lo_u16 v41, v44, 13
	v_sub_nc_u16 v37, v9, v37
	v_sub_nc_u16 v39, v8, v39
	;; [unrolled: 1-line block ×3, first 2 shown]
	v_and_b32_e32 v45, 0xff, v38
	v_sub_nc_u16 v34, v34, v41
	v_and_b32_e32 v47, 0xffff, v37
	v_and_b32_e32 v48, 0xffff, v39
	;; [unrolled: 1-line block ×3, first 2 shown]
	v_lshlrev_b32_e32 v37, 2, v45
	v_and_b32_e32 v49, 0xffff, v34
	v_lshlrev_b32_e32 v34, 2, v47
	v_lshlrev_b32_e32 v38, 2, v48
	;; [unrolled: 1-line block ×3, first 2 shown]
	global_load_b32 v39, v37, s[8:9]
	v_lshlrev_b32_e32 v37, 2, v49
	s_clause 0x3
	global_load_b32 v40, v34, s[8:9]
	global_load_b32 v41, v38, s[8:9]
	;; [unrolled: 1-line block ×4, first 2 shown]
	v_and_b32_e32 v36, 0xffff, v36
	v_lshlrev_b32_e32 v45, 1, v45
	v_mul_u32_u24_e32 v50, 52, v42
	v_mul_u32_u24_e32 v51, 52, v35
	v_mul_lo_u16 v35, v44, 26
	v_mul_u32_u24_e32 v36, 52, v36
	v_lshlrev_b32_e32 v44, 1, v47
	v_lshlrev_b32_e32 v13, 1, v13
	v_mul_u32_u24_e32 v43, 52, v43
	v_lshlrev_b32_e32 v47, 1, v48
	v_add3_u32 v42, 0, v36, v45
	v_add3_u32 v45, 0, v50, v44
	;; [unrolled: 1-line block ×3, first 2 shown]
	v_lshlrev_b32_e32 v36, 1, v49
	s_load_b64 s[2:3], s[2:3], 0x0
	s_wait_dscnt 0x0
	v_lshrrev_b32_e32 v37, 16, v33
	v_add3_u32 v43, 0, v43, v47
	v_lshrrev_b32_e32 v46, 16, v12
	global_wb scope:SCOPE_SE
	s_wait_loadcnt 0x0
	s_wait_kmcnt 0x0
	s_barrier_signal -1
	s_barrier_wait -1
	global_inv scope:SCOPE_SE
	v_lshrrev_b32_e32 v50, 16, v39
	v_lshrrev_b32_e32 v51, 16, v40
	;; [unrolled: 1-line block ×5, first 2 shown]
	v_mul_f16_e32 v13, v24, v50
	v_mul_f16_e32 v52, v20, v51
	;; [unrolled: 1-line block ×5, first 2 shown]
	v_fmac_f16_e32 v13, v28, v39
	v_fmac_f16_e32 v52, v27, v40
	;; [unrolled: 1-line block ×5, first 2 shown]
	v_sub_f16_e32 v56, v29, v13
	v_sub_f16_e32 v52, v30, v52
	;; [unrolled: 1-line block ×5, first 2 shown]
	v_fma_f16 v29, v29, 2.0, -v56
	v_fma_f16 v30, v30, 2.0, -v52
	;; [unrolled: 1-line block ×4, first 2 shown]
	ds_store_b16 v42, v29
	ds_store_b16 v42, v56 offset:26
	ds_store_b16 v45, v30
	ds_store_b16 v45, v52 offset:26
	;; [unrolled: 2-line block ×4, first 2 shown]
	s_and_saveexec_b32 s0, s1
	s_cbranch_execz .LBB0_21
; %bb.20:
	v_and_b32_e32 v29, 0xffff, v35
	v_fma_f16 v12, v12, 2.0, -v13
	s_delay_alu instid0(VALU_DEP_2) | instskip(NEXT) | instid1(VALU_DEP_1)
	v_lshlrev_b32_e32 v29, 1, v29
	v_add3_u32 v29, 0, v36, v29
	ds_store_b16 v29, v12
	ds_store_b16 v29, v13 offset:26
.LBB0_21:
	s_wait_alu 0xfffe
	s_or_b32 exec_lo, exec_lo, s0
	v_mul_f16_e32 v12, v28, v50
	v_mul_f16_e32 v27, v27, v51
	;; [unrolled: 1-line block ×4, first 2 shown]
	global_wb scope:SCOPE_SE
	s_wait_dscnt 0x0
	v_fma_f16 v12, v24, v39, -v12
	v_fma_f16 v20, v20, v40, -v27
	v_fma_f16 v23, v23, v41, -v25
	v_fma_f16 v30, v19, v38, -v26
	s_barrier_signal -1
	v_sub_f16_e32 v31, v14, v12
	v_sub_f16_e32 v32, v16, v20
	;; [unrolled: 1-line block ×3, first 2 shown]
	s_barrier_wait -1
	global_inv scope:SCOPE_SE
	ds_load_u16 v19, v0
	ds_load_u16 v20, v0 offset:364
	ds_load_u16 v24, v0 offset:1456
	;; [unrolled: 1-line block ×8, first 2 shown]
	v_mul_f16_e32 v27, v46, v47
	v_sub_f16_e32 v30, v18, v30
	v_fma_f16 v16, v16, 2.0, -v32
	v_fma_f16 v17, v17, 2.0, -v38
	global_wb scope:SCOPE_SE
	s_wait_dscnt 0x0
	v_fma_f16 v27, v37, v34, -v27
	v_fma_f16 v34, v14, 2.0, -v31
	v_fma_f16 v18, v18, 2.0, -v30
	s_barrier_signal -1
	s_barrier_wait -1
	v_sub_f16_e32 v14, v33, v27
	global_inv scope:SCOPE_SE
	ds_store_b16 v42, v34
	ds_store_b16 v42, v31 offset:26
	ds_store_b16 v45, v16
	ds_store_b16 v45, v32 offset:26
	;; [unrolled: 2-line block ×4, first 2 shown]
	s_and_saveexec_b32 s0, s1
	s_cbranch_execz .LBB0_23
; %bb.22:
	v_and_b32_e32 v16, 0xffff, v35
	v_fma_f16 v17, v33, 2.0, -v14
	s_delay_alu instid0(VALU_DEP_2) | instskip(NEXT) | instid1(VALU_DEP_1)
	v_lshlrev_b32_e32 v16, 1, v16
	v_add3_u32 v16, 0, v36, v16
	ds_store_b16 v16, v17
	ds_store_b16 v16, v14 offset:26
.LBB0_23:
	s_wait_alu 0xfffe
	s_or_b32 exec_lo, exec_lo, s0
	v_lshrrev_b16 v16, 11, v22
	v_lshrrev_b32_e32 v30, 19, v21
	v_lshrrev_b32_e32 v15, 19, v15
	global_wb scope:SCOPE_SE
	s_wait_dscnt 0x0
	s_barrier_signal -1
	v_mul_lo_u16 v17, v16, 26
	v_mul_lo_u16 v18, v30, 26
	;; [unrolled: 1-line block ×3, first 2 shown]
	s_barrier_wait -1
	global_inv scope:SCOPE_SE
	v_sub_nc_u16 v17, v5, v17
	v_sub_nc_u16 v18, v9, v18
	;; [unrolled: 1-line block ×3, first 2 shown]
	v_and_b32_e32 v16, 0xffff, v16
	v_mul_u32_u24_e32 v30, 0x9c, v30
	v_and_b32_e32 v31, 0xff, v17
	v_and_b32_e32 v32, 0xffff, v18
	v_and_b32_e32 v33, 0xffff, v21
	v_mul_u32_u24_e32 v15, 0x9c, v15
	v_mul_u32_u24_e32 v16, 0x9c, v16
	v_lshlrev_b32_e32 v17, 3, v31
	v_lshlrev_b32_e32 v18, 3, v32
	;; [unrolled: 1-line block ×5, first 2 shown]
	s_clause 0x2
	global_load_b64 v[21:22], v17, s[8:9] offset:52
	global_load_b64 v[42:43], v18, s[8:9] offset:52
	;; [unrolled: 1-line block ×3, first 2 shown]
	ds_load_u16 v27, v0
	ds_load_u16 v18, v0 offset:364
	ds_load_u16 v37, v0 offset:1456
	;; [unrolled: 1-line block ×8, first 2 shown]
	v_lshlrev_b32_e32 v33, 1, v33
	v_add3_u32 v32, 0, v16, v31
	v_add3_u32 v31, 0, v30, v34
	global_wb scope:SCOPE_SE
	s_wait_loadcnt_dscnt 0x0
	s_barrier_signal -1
	v_add3_u32 v30, 0, v15, v33
	s_barrier_wait -1
	global_inv scope:SCOPE_SE
	v_cmp_gt_u32_e64 s0, 52, v5
	v_lshrrev_b32_e32 v15, 16, v21
	v_lshrrev_b32_e32 v16, 16, v22
	;; [unrolled: 1-line block ×6, first 2 shown]
	v_mul_f16_e32 v38, v40, v15
	v_mul_f16_e32 v39, v36, v16
	v_mul_f16_e32 v50, v29, v15
	v_mul_f16_e32 v15, v37, v33
	v_mul_f16_e32 v34, v46, v35
	v_mul_f16_e32 v51, v24, v33
	v_mul_f16_e32 v52, v23, v35
	v_mul_f16_e32 v33, v47, v41
	v_mul_f16_e32 v35, v48, v49
	v_mul_f16_e32 v16, v28, v16
	v_fmac_f16_e32 v38, v29, v21
	v_fmac_f16_e32 v39, v28, v22
	v_fmac_f16_e32 v15, v24, v42
	v_fmac_f16_e32 v34, v23, v43
	v_mul_f16_e32 v53, v25, v41
	v_mul_f16_e32 v49, v26, v49
	v_fmac_f16_e32 v33, v25, v44
	v_fmac_f16_e32 v35, v26, v45
	v_fma_f16 v41, v40, v21, -v50
	v_fma_f16 v36, v36, v22, -v16
	v_add_f16_e32 v21, v38, v39
	v_fma_f16 v40, v37, v42, -v51
	v_fma_f16 v28, v46, v43, -v52
	v_add_f16_e32 v24, v15, v34
	;; [unrolled: 3-line block ×3, first 2 shown]
	v_add_f16_e32 v42, v33, v35
	v_sub_f16_e32 v22, v41, v36
	v_fmac_f16_e32 v19, -0.5, v21
	v_add_f16_e32 v23, v20, v15
	v_sub_f16_e32 v25, v40, v28
	v_add_f16_e32 v26, v12, v33
	v_fmac_f16_e32 v20, -0.5, v24
	v_sub_f16_e32 v43, v37, v29
	v_add_f16_e32 v44, v16, v39
	v_fmac_f16_e32 v12, -0.5, v42
	v_fmamk_f16 v24, v22, 0xbaee, v19
	v_fmac_f16_e32 v19, 0x3aee, v22
	v_add_f16_e32 v21, v23, v34
	v_add_f16_e32 v23, v26, v35
	v_fmamk_f16 v22, v25, 0xbaee, v20
	v_fmac_f16_e32 v20, 0x3aee, v25
	v_fmamk_f16 v16, v43, 0xbaee, v12
	v_fmac_f16_e32 v12, 0x3aee, v43
	ds_store_b16 v32, v44
	ds_store_b16 v32, v24 offset:52
	ds_store_b16 v32, v19 offset:104
	ds_store_b16 v31, v21
	ds_store_b16 v31, v22 offset:52
	ds_store_b16 v31, v20 offset:104
	;; [unrolled: 3-line block ×3, first 2 shown]
	global_wb scope:SCOPE_SE
	s_wait_dscnt 0x0
	s_barrier_signal -1
	s_barrier_wait -1
	global_inv scope:SCOPE_SE
	ds_load_u16 v19, v0
	ds_load_u16 v26, v0 offset:468
	ds_load_u16 v25, v0 offset:936
	;; [unrolled: 1-line block ×6, first 2 shown]
                                        ; implicit-def: $vgpr20
	s_and_saveexec_b32 s1, s0
	s_cbranch_execz .LBB0_25
; %bb.24:
	ds_load_u16 v6, v0 offset:2236
	ds_load_u16 v16, v0 offset:364
	;; [unrolled: 1-line block ×6, first 2 shown]
	s_wait_dscnt 0x5
	ds_load_u16_d16_hi v6, v0 offset:2704
.LBB0_25:
	s_wait_alu 0xfffe
	s_or_b32 exec_lo, exec_lo, s1
	v_add_f16_e32 v42, v41, v36
	v_sub_f16_e32 v38, v38, v39
	v_add_f16_e32 v39, v40, v28
	v_add_f16_e32 v41, v27, v41
	;; [unrolled: 1-line block ×3, first 2 shown]
	v_fmac_f16_e32 v27, -0.5, v42
	v_add_f16_e32 v42, v37, v29
	v_fmac_f16_e32 v18, -0.5, v39
	v_sub_f16_e32 v15, v15, v34
	v_add_f16_e32 v36, v41, v36
	v_add_f16_e32 v34, v17, v37
	v_fmac_f16_e32 v17, -0.5, v42
	v_sub_f16_e32 v33, v33, v35
	v_fmamk_f16 v39, v38, 0x3aee, v27
	v_fmac_f16_e32 v27, 0xbaee, v38
	v_add_f16_e32 v28, v40, v28
	v_fmamk_f16 v35, v15, 0x3aee, v18
	v_fmac_f16_e32 v18, 0xbaee, v15
	v_add_f16_e32 v29, v34, v29
	v_fmamk_f16 v15, v33, 0x3aee, v17
	v_fmac_f16_e32 v17, 0xbaee, v33
	global_wb scope:SCOPE_SE
	s_wait_dscnt 0x0
	s_barrier_signal -1
	s_barrier_wait -1
	global_inv scope:SCOPE_SE
	ds_store_b16 v32, v36
	ds_store_b16 v32, v39 offset:52
	ds_store_b16 v32, v27 offset:104
	ds_store_b16 v31, v28
	ds_store_b16 v31, v35 offset:52
	ds_store_b16 v31, v18 offset:104
	;; [unrolled: 3-line block ×3, first 2 shown]
	global_wb scope:SCOPE_SE
	s_wait_dscnt 0x0
	s_barrier_signal -1
	s_barrier_wait -1
	global_inv scope:SCOPE_SE
	ds_load_u16 v18, v0
	ds_load_u16 v39, v0 offset:468
	ds_load_u16 v37, v0 offset:936
	ds_load_u16 v36, v0 offset:1404
	ds_load_u16 v33, v0 offset:1872
	ds_load_u16 v31, v0 offset:2340
	ds_load_u16 v30, v0 offset:2808
                                        ; implicit-def: $vgpr28
	s_and_saveexec_b32 s1, s0
	s_cbranch_execz .LBB0_27
; %bb.26:
	ds_load_u16 v10, v0 offset:2236
	ds_load_u16 v15, v0 offset:364
	;; [unrolled: 1-line block ×6, first 2 shown]
	s_wait_dscnt 0x5
	ds_load_u16_d16_hi v10, v0 offset:2704
.LBB0_27:
	s_wait_alu 0xfffe
	s_or_b32 exec_lo, exec_lo, s1
	v_lshrrev_b16 v27, 1, v5
	v_lshrrev_b16 v29, 1, v9
	v_lshrrev_b32_e32 v60, 16, v6
	s_wait_dscnt 0x0
	v_lshrrev_b32_e32 v61, 16, v10
	v_and_b32_e32 v27, 0x7f, v27
	v_and_b32_e32 v29, 0xffff, v29
	s_delay_alu instid0(VALU_DEP_2) | instskip(NEXT) | instid1(VALU_DEP_2)
	v_mul_lo_u16 v27, 0xd3, v27
	v_mul_u32_u24_e32 v29, 0x6907, v29
	s_delay_alu instid0(VALU_DEP_2) | instskip(NEXT) | instid1(VALU_DEP_2)
	v_lshrrev_b16 v27, 13, v27
	v_lshrrev_b32_e32 v29, 20, v29
	s_delay_alu instid0(VALU_DEP_2) | instskip(NEXT) | instid1(VALU_DEP_2)
	v_mul_lo_u16 v32, 0x4e, v27
	v_mul_lo_u16 v29, 0x4e, v29
	v_and_b32_e32 v27, 0xffff, v27
	s_delay_alu instid0(VALU_DEP_3) | instskip(NEXT) | instid1(VALU_DEP_3)
	v_sub_nc_u16 v32, v5, v32
	v_sub_nc_u16 v29, v9, v29
	s_delay_alu instid0(VALU_DEP_2) | instskip(NEXT) | instid1(VALU_DEP_2)
	v_and_b32_e32 v32, 0xff, v32
	v_and_b32_e32 v29, 0xffff, v29
	s_delay_alu instid0(VALU_DEP_2) | instskip(NEXT) | instid1(VALU_DEP_2)
	v_mul_u32_u24_e32 v34, 6, v32
	v_mul_u32_u24_e32 v35, 6, v29
	v_lshlrev_b32_e32 v32, 1, v32
	s_delay_alu instid0(VALU_DEP_3) | instskip(NEXT) | instid1(VALU_DEP_3)
	v_lshlrev_b32_e32 v34, 2, v34
	v_lshlrev_b32_e32 v35, 2, v35
	s_clause 0x3
	global_load_b128 v[48:51], v34, s[8:9] offset:260
	global_load_b64 v[56:57], v34, s[8:9] offset:276
	global_load_b128 v[52:55], v35, s[8:9] offset:260
	global_load_b64 v[58:59], v35, s[8:9] offset:276
	v_mul_u32_u24_e32 v34, 0x444, v27
	v_lshl_add_u32 v27, v29, 1, 0
	global_wb scope:SCOPE_SE
	s_wait_loadcnt 0x0
	s_barrier_signal -1
	s_barrier_wait -1
	v_add3_u32 v29, 0, v34, v32
	global_inv scope:SCOPE_SE
	v_lshrrev_b32_e32 v40, 16, v56
	v_lshrrev_b32_e32 v32, 16, v48
	;; [unrolled: 1-line block ×8, first 2 shown]
	v_mul_f16_e32 v43, v39, v32
	v_mul_f16_e32 v42, v37, v34
	;; [unrolled: 1-line block ×4, first 2 shown]
	v_lshrrev_b32_e32 v62, 16, v52
	v_lshrrev_b32_e32 v63, 16, v53
	v_mul_f16_e32 v69, v25, v34
	v_mul_f16_e32 v44, v36, v35
	;; [unrolled: 1-line block ×9, first 2 shown]
	v_fmac_f16_e32 v43, v26, v48
	v_fmac_f16_e32 v42, v25, v49
	;; [unrolled: 1-line block ×4, first 2 shown]
	v_mul_f16_e32 v68, v26, v32
	v_mul_f16_e32 v73, v21, v41
	;; [unrolled: 1-line block ×7, first 2 shown]
	v_fma_f16 v37, v37, v49, -v69
	v_fmac_f16_e32 v44, v24, v50
	v_fma_f16 v25, v36, v50, -v70
	v_fmac_f16_e32 v45, v23, v51
	v_fma_f16 v33, v33, v51, -v71
	v_fma_f16 v31, v31, v56, -v72
	v_fmac_f16_e32 v35, v7, v54
	v_fmac_f16_e32 v38, v6, v55
	v_fma_f16 v6, v10, v55, -v65
	v_add_f16_e32 v7, v43, v47
	v_add_f16_e32 v10, v42, v46
	v_fma_f16 v26, v39, v48, -v68
	v_fma_f16 v30, v30, v57, -v73
	v_fmac_f16_e32 v34, v12, v52
	v_fma_f16 v22, v17, v52, -v62
	v_fmac_f16_e32 v32, v13, v53
	v_fma_f16 v23, v14, v53, -v63
	v_add_f16_e32 v12, v44, v45
	v_sub_f16_e32 v13, v37, v31
	v_sub_f16_e32 v14, v33, v25
	v_add_f16_e32 v17, v10, v7
	v_fma_f16 v21, v11, v54, -v64
	v_sub_f16_e32 v11, v26, v30
	v_sub_f16_e32 v36, v10, v7
	;; [unrolled: 1-line block ×4, first 2 shown]
	v_add_f16_e32 v39, v14, v13
	v_sub_f16_e32 v48, v14, v13
	v_add_f16_e32 v12, v12, v17
	v_sub_f16_e32 v13, v13, v11
	v_sub_f16_e32 v14, v11, v14
	v_add_f16_e32 v11, v39, v11
	v_mul_f16_e32 v7, 0x3a52, v7
	v_mul_f16_e32 v39, 0x3846, v48
	v_add_f16_e32 v49, v19, v12
	v_mul_f16_e32 v48, 0xbb00, v13
	v_mul_f16_e32 v17, 0x2b26, v10
	v_lshrrev_b32_e32 v66, 16, v58
	v_lshrrev_b32_e32 v67, 16, v59
	v_fmamk_f16 v10, v10, 0x2b26, v7
	v_fmamk_f16 v50, v14, 0xb574, v39
	;; [unrolled: 1-line block ×3, first 2 shown]
	v_fma_f16 v14, v14, 0x3574, -v48
	v_fma_f16 v7, v36, 0xb9e0, -v7
	;; [unrolled: 1-line block ×4, first 2 shown]
	v_mul_f16_e32 v40, v61, v66
	v_mul_f16_e32 v66, v60, v66
	;; [unrolled: 1-line block ×4, first 2 shown]
	v_fmac_f16_e32 v50, 0xb70e, v11
	v_add_f16_e32 v10, v10, v12
	v_fmac_f16_e32 v14, 0xb70e, v11
	v_add_f16_e32 v7, v7, v12
	;; [unrolled: 2-line block ×3, first 2 shown]
	v_fmac_f16_e32 v40, v60, v58
	v_fma_f16 v24, v61, v58, -v66
	v_fmac_f16_e32 v41, v20, v59
	v_fma_f16 v19, v28, v59, -v67
	v_add_f16_e32 v12, v50, v10
	v_add_f16_e32 v17, v14, v7
	v_sub_f16_e32 v20, v11, v13
	v_add_f16_e32 v11, v13, v11
	v_sub_f16_e32 v7, v7, v14
	v_sub_f16_e32 v10, v10, v50
	ds_store_b16 v29, v49
	ds_store_b16 v29, v12 offset:156
	ds_store_b16 v29, v17 offset:312
	;; [unrolled: 1-line block ×6, first 2 shown]
	s_and_saveexec_b32 s1, s0
	s_cbranch_execz .LBB0_29
; %bb.28:
	v_add_f16_e32 v7, v34, v41
	v_add_f16_e32 v10, v32, v40
	;; [unrolled: 1-line block ×3, first 2 shown]
	v_sub_f16_e32 v13, v6, v21
	v_sub_f16_e32 v17, v23, v24
	;; [unrolled: 1-line block ×3, first 2 shown]
	v_add_f16_e32 v14, v10, v7
	v_sub_f16_e32 v20, v7, v11
	v_sub_f16_e32 v28, v11, v10
	;; [unrolled: 1-line block ×4, first 2 shown]
	v_add_f16_e32 v11, v11, v14
	v_sub_f16_e32 v14, v13, v17
	v_add_f16_e32 v13, v13, v17
	v_sub_f16_e32 v17, v17, v12
	v_mul_f16_e32 v10, 0x3a52, v20
	v_add_f16_e32 v16, v16, v11
	v_mul_f16_e32 v14, 0x3846, v14
	v_add_f16_e32 v12, v13, v12
	v_mul_f16_e32 v20, 0xbb00, v17
	v_fmamk_f16 v13, v28, 0x2b26, v10
	v_mul_f16_e32 v28, 0x2b26, v28
	v_fmamk_f16 v11, v11, 0xbcab, v16
	v_fmamk_f16 v39, v36, 0xb574, v14
	v_fma_f16 v10, v7, 0xb9e0, -v10
	v_fma_f16 v20, v36, 0x3574, -v20
	v_fma_f16 v14, v17, 0xbb00, -v14
	v_fma_f16 v7, v7, 0x39e0, -v28
	v_add_f16_e32 v13, v13, v11
	v_fmac_f16_e32 v39, 0xb70e, v12
	v_add_f16_e32 v10, v10, v11
	v_fmac_f16_e32 v20, 0xb70e, v12
	v_fmac_f16_e32 v14, 0xb70e, v12
	v_add_f16_e32 v7, v7, v11
	v_sub_f16_e32 v11, v13, v39
	v_add_f16_e32 v13, v39, v13
	v_sub_f16_e32 v12, v10, v20
	;; [unrolled: 2-line block ×3, first 2 shown]
	v_add_f16_e32 v7, v14, v7
	ds_store_b16 v27, v16 offset:2184
	ds_store_b16 v27, v13 offset:2340
	ds_store_b16 v27, v10 offset:2496
	ds_store_b16 v27, v17 offset:2652
	ds_store_b16 v27, v7 offset:2808
	ds_store_b16 v27, v12 offset:2964
	ds_store_b16 v27, v11 offset:3120
.LBB0_29:
	s_wait_alu 0xfffe
	s_or_b32 exec_lo, exec_lo, s1
	v_add_f16_e32 v7, v26, v30
	v_add_f16_e32 v10, v37, v31
	v_sub_f16_e32 v11, v43, v47
	v_add_f16_e32 v12, v25, v33
	v_sub_f16_e32 v13, v42, v46
	v_sub_f16_e32 v14, v45, v44
	v_add_f16_e32 v16, v10, v7
	v_sub_f16_e32 v17, v10, v7
	v_sub_f16_e32 v7, v7, v12
	;; [unrolled: 1-line block ×3, first 2 shown]
	v_add_f16_e32 v20, v14, v13
	v_add_f16_e32 v12, v12, v16
	v_sub_f16_e32 v16, v14, v13
	v_sub_f16_e32 v13, v13, v11
	;; [unrolled: 1-line block ×3, first 2 shown]
	v_add_f16_e32 v11, v20, v11
	v_add_f16_e32 v20, v18, v12
	v_mul_f16_e32 v7, 0x3a52, v7
	v_mul_f16_e32 v18, 0x2b26, v10
	;; [unrolled: 1-line block ×4, first 2 shown]
	v_fmamk_f16 v12, v12, 0xbcab, v20
	v_fmamk_f16 v10, v10, 0x2b26, v7
	v_fma_f16 v18, v17, 0x39e0, -v18
	v_fma_f16 v7, v17, 0xb9e0, -v7
	v_fmamk_f16 v26, v14, 0xb574, v16
	v_fma_f16 v28, v13, 0xbb00, -v16
	v_fma_f16 v25, v14, 0x3574, -v25
	v_add_f16_e32 v30, v10, v12
	v_add_f16_e32 v31, v18, v12
	;; [unrolled: 1-line block ×3, first 2 shown]
	v_fmac_f16_e32 v26, 0xb70e, v11
	v_fmac_f16_e32 v28, 0xb70e, v11
	;; [unrolled: 1-line block ×3, first 2 shown]
	global_wb scope:SCOPE_SE
	s_wait_dscnt 0x0
	s_barrier_signal -1
	s_barrier_wait -1
	global_inv scope:SCOPE_SE
	ds_load_u16 v7, v0
	ds_load_u16 v10, v0 offset:364
	ds_load_u16 v14, v0 offset:1456
	ds_load_u16 v16, v0 offset:2548
	ds_load_u16 v11, v0 offset:2184
	ds_load_u16 v17, v0 offset:1820
	ds_load_u16 v12, v0 offset:1092
	ds_load_u16 v13, v0 offset:728
	ds_load_u16 v18, v0 offset:2912
	v_sub_f16_e32 v36, v30, v26
	v_sub_f16_e32 v37, v33, v25
	v_add_f16_e32 v39, v28, v31
	v_sub_f16_e32 v28, v31, v28
	v_add_f16_e32 v25, v25, v33
	v_add_f16_e32 v26, v26, v30
	global_wb scope:SCOPE_SE
	s_wait_dscnt 0x0
	s_barrier_signal -1
	s_barrier_wait -1
	global_inv scope:SCOPE_SE
	ds_store_b16 v29, v20
	ds_store_b16 v29, v36 offset:156
	ds_store_b16 v29, v37 offset:312
	;; [unrolled: 1-line block ×6, first 2 shown]
	s_and_saveexec_b32 s1, s0
	s_cbranch_execz .LBB0_31
; %bb.30:
	v_add_f16_e32 v19, v22, v19
	v_add_f16_e32 v20, v23, v24
	;; [unrolled: 1-line block ×3, first 2 shown]
	v_sub_f16_e32 v21, v32, v40
	v_sub_f16_e32 v23, v38, v35
	;; [unrolled: 1-line block ×3, first 2 shown]
	v_add_f16_e32 v24, v20, v19
	v_sub_f16_e32 v25, v20, v19
	v_sub_f16_e32 v19, v19, v6
	;; [unrolled: 1-line block ×3, first 2 shown]
	v_add_f16_e32 v26, v23, v21
	v_add_f16_e32 v6, v6, v24
	v_sub_f16_e32 v24, v23, v21
	v_sub_f16_e32 v21, v21, v22
	;; [unrolled: 1-line block ×3, first 2 shown]
	v_add_f16_e32 v22, v26, v22
	v_add_f16_e32 v15, v15, v6
	v_mul_f16_e32 v19, 0x3a52, v19
	v_mul_f16_e32 v26, 0x2b26, v20
	v_mul_f16_e32 v24, 0x3846, v24
	v_mul_f16_e32 v28, 0xbb00, v21
	v_fmamk_f16 v6, v6, 0xbcab, v15
	v_fmamk_f16 v20, v20, 0x2b26, v19
	v_fma_f16 v26, v25, 0x39e0, -v26
	v_fma_f16 v19, v25, 0xb9e0, -v19
	v_fmamk_f16 v25, v23, 0xb574, v24
	v_fma_f16 v23, v23, 0x3574, -v28
	v_fma_f16 v21, v21, 0xbb00, -v24
	v_add_f16_e32 v20, v20, v6
	v_add_f16_e32 v24, v26, v6
	v_fmac_f16_e32 v25, 0xb70e, v22
	v_add_f16_e32 v6, v19, v6
	v_fmac_f16_e32 v23, 0xb70e, v22
	v_fmac_f16_e32 v21, 0xb70e, v22
	s_delay_alu instid0(VALU_DEP_4) | instskip(SKIP_1) | instid1(VALU_DEP_4)
	v_sub_f16_e32 v19, v20, v25
	v_add_f16_e32 v20, v25, v20
	v_sub_f16_e32 v22, v6, v23
	s_delay_alu instid0(VALU_DEP_4)
	v_add_f16_e32 v26, v21, v24
	v_sub_f16_e32 v21, v24, v21
	v_add_f16_e32 v6, v23, v6
	ds_store_b16 v27, v15 offset:2184
	ds_store_b16 v27, v19 offset:2340
	;; [unrolled: 1-line block ×7, first 2 shown]
.LBB0_31:
	s_wait_alu 0xfffe
	s_or_b32 exec_lo, exec_lo, s1
	global_wb scope:SCOPE_SE
	s_wait_dscnt 0x0
	s_barrier_signal -1
	s_barrier_wait -1
	global_inv scope:SCOPE_SE
	s_and_saveexec_b32 s0, vcc_lo
	s_cbranch_execz .LBB0_33
; %bb.32:
	v_dual_mov_b32 v20, 0 :: v_dual_lshlrev_b32 v19, 1, v8
	v_mul_lo_u32 v6, s3, v3
	v_lshrrev_b32_e32 v8, 1, v8
	s_delay_alu instid0(VALU_DEP_3)
	v_lshlrev_b64_e32 v[21:22], 2, v[19:20]
	v_lshlrev_b32_e32 v19, 1, v9
	v_mul_lo_u32 v9, s2, v4
	v_mad_co_u64_u32 v[3:4], null, s2, v3, 0
	v_mul_hi_u32 v8, 0xf00f00f1, v8
	v_add_co_u32 v21, vcc_lo, s8, v21
	s_wait_alu 0xfffd
	v_add_co_ci_u32_e32 v22, vcc_lo, s9, v22, vcc_lo
	s_delay_alu instid0(VALU_DEP_4)
	v_add3_u32 v4, v4, v9, v6
	v_mov_b32_e32 v6, v20
	v_lshlrev_b64_e32 v[23:24], 2, v[19:20]
	v_lshlrev_b32_e32 v19, 1, v5
	global_load_b64 v[21:22], v[21:22], off offset:2132
	v_lshlrev_b64_e32 v[3:4], 2, v[3:4]
	v_lshlrev_b64_e32 v[5:6], 2, v[5:6]
	;; [unrolled: 1-line block ×3, first 2 shown]
	v_add_co_u32 v23, vcc_lo, s8, v23
	s_wait_alu 0xfffd
	v_add_co_ci_u32_e32 v24, vcc_lo, s9, v24, vcc_lo
	s_delay_alu instid0(VALU_DEP_3)
	v_add_co_u32 v25, vcc_lo, s8, v25
	global_load_b64 v[23:24], v[23:24], off offset:2132
	s_wait_alu 0xfffd
	v_add_co_ci_u32_e32 v26, vcc_lo, s9, v26, vcc_lo
	v_add_co_u32 v3, vcc_lo, s6, v3
	s_wait_alu 0xfffd
	v_add_co_ci_u32_e32 v4, vcc_lo, s7, v4, vcc_lo
	global_load_b64 v[25:26], v[25:26], off offset:2132
	ds_load_u16 v15, v0 offset:2912
	ds_load_u16 v27, v0 offset:2548
	;; [unrolled: 1-line block ×8, first 2 shown]
	ds_load_u16 v33, v0
	v_lshlrev_b64_e32 v[0:1], 2, v[1:2]
	v_lshrrev_b32_e32 v2, 8, v8
	s_delay_alu instid0(VALU_DEP_1) | instskip(NEXT) | instid1(VALU_DEP_3)
	v_mul_u32_u24_e32 v19, 0x444, v2
	v_add_co_u32 v2, vcc_lo, v3, v0
	s_wait_alu 0xfffd
	s_delay_alu instid0(VALU_DEP_4) | instskip(NEXT) | instid1(VALU_DEP_3)
	v_add_co_ci_u32_e32 v3, vcc_lo, v4, v1, vcc_lo
	v_lshlrev_b64_e32 v[0:1], 2, v[19:20]
	s_delay_alu instid0(VALU_DEP_3) | instskip(SKIP_1) | instid1(VALU_DEP_3)
	v_add_co_u32 v2, vcc_lo, v2, v5
	s_wait_alu 0xfffd
	v_add_co_ci_u32_e32 v3, vcc_lo, v3, v6, vcc_lo
	s_delay_alu instid0(VALU_DEP_2) | instskip(SKIP_1) | instid1(VALU_DEP_2)
	v_add_co_u32 v0, vcc_lo, v2, v0
	s_wait_alu 0xfffd
	v_add_co_ci_u32_e32 v1, vcc_lo, v3, v1, vcc_lo
	s_wait_loadcnt 0x2
	v_lshrrev_b32_e32 v4, 16, v21
	v_lshrrev_b32_e32 v5, 16, v22
	s_delay_alu instid0(VALU_DEP_2) | instskip(NEXT) | instid1(VALU_DEP_2)
	v_mul_f16_e32 v6, v17, v4
	v_mul_f16_e32 v8, v18, v5
	s_wait_dscnt 0x5
	v_mul_f16_e32 v4, v9, v4
	v_mul_f16_e32 v5, v15, v5
	v_fma_f16 v6, v9, v21, -v6
	v_fma_f16 v8, v15, v22, -v8
	s_wait_loadcnt 0x1
	v_lshrrev_b32_e32 v19, 16, v23
	v_lshrrev_b32_e32 v20, 16, v24
	v_fmac_f16_e32 v4, v17, v21
	v_fmac_f16_e32 v5, v18, v22
	v_add_f16_e32 v21, v6, v8
	v_mul_f16_e32 v9, v14, v19
	v_mul_f16_e32 v15, v16, v20
	s_wait_dscnt 0x4
	v_mul_f16_e32 v17, v29, v19
	v_mul_f16_e32 v18, v27, v20
	s_wait_loadcnt 0x0
	v_lshrrev_b32_e32 v19, 16, v25
	v_lshrrev_b32_e32 v20, 16, v26
	v_sub_f16_e32 v22, v4, v5
	v_add_f16_e32 v34, v4, v5
	v_sub_f16_e32 v35, v6, v8
	s_wait_dscnt 0x2
	v_add_f16_e32 v6, v31, v6
	v_add_f16_e32 v4, v13, v4
	v_fma_f16 v9, v29, v23, -v9
	v_fma_f16 v15, v27, v24, -v15
	v_fmac_f16_e32 v17, v14, v23
	v_fmac_f16_e32 v18, v16, v24
	v_mul_f16_e32 v14, v12, v19
	v_mul_f16_e32 v16, v11, v20
	;; [unrolled: 1-line block ×4, first 2 shown]
	v_fma_f16 v21, -0.5, v21, v31
	v_add_f16_e32 v6, v6, v8
	v_add_f16_e32 v4, v4, v5
	;; [unrolled: 1-line block ×3, first 2 shown]
	v_sub_f16_e32 v8, v17, v18
	v_add_f16_e32 v23, v17, v18
	v_sub_f16_e32 v24, v9, v15
	s_wait_dscnt 0x1
	v_add_f16_e32 v9, v32, v9
	v_add_f16_e32 v17, v10, v17
	v_fma_f16 v14, v30, v25, -v14
	v_fma_f16 v16, v28, v26, -v16
	v_fmac_f16_e32 v19, v12, v25
	v_fmac_f16_e32 v20, v11, v26
	v_fmamk_f16 v11, v22, 0xbaee, v21
	v_fmac_f16_e32 v21, 0x3aee, v22
	v_fma_f16 v5, -0.5, v5, v32
	v_add_f16_e32 v9, v9, v15
	v_add_f16_e32 v15, v17, v18
	;; [unrolled: 1-line block ×4, first 2 shown]
	v_fma_f16 v13, -0.5, v34, v13
	v_fma_f16 v10, -0.5, v23, v10
	v_sub_f16_e32 v18, v19, v20
	v_sub_f16_e32 v23, v14, v16
	s_wait_dscnt 0x0
	v_add_f16_e32 v14, v33, v14
	v_add_f16_e32 v19, v7, v19
	v_pack_b32_f16 v4, v4, v6
	v_fmamk_f16 v6, v8, 0xbaee, v5
	v_fmac_f16_e32 v5, 0x3aee, v8
	v_fma_f16 v8, -0.5, v17, v33
	v_fma_f16 v7, -0.5, v22, v7
	v_fmamk_f16 v12, v35, 0x3aee, v13
	v_add_f16_e32 v14, v14, v16
	v_add_f16_e32 v16, v19, v20
	v_fmamk_f16 v17, v18, 0xbaee, v8
	v_fmamk_f16 v19, v23, 0x3aee, v7
	v_fmac_f16_e32 v8, 0x3aee, v18
	v_fmac_f16_e32 v7, 0xbaee, v23
	v_fmamk_f16 v25, v24, 0x3aee, v10
	v_fmac_f16_e32 v10, 0xbaee, v24
	v_fmac_f16_e32 v13, 0xbaee, v35
	v_pack_b32_f16 v11, v12, v11
	v_pack_b32_f16 v12, v16, v14
	v_pack_b32_f16 v7, v7, v8
	v_pack_b32_f16 v9, v15, v9
	v_pack_b32_f16 v5, v10, v5
	v_pack_b32_f16 v8, v19, v17
	v_pack_b32_f16 v13, v13, v21
	v_pack_b32_f16 v6, v25, v6
	s_clause 0x8
	global_store_b32 v[2:3], v12, off
	global_store_b32 v[2:3], v7, off offset:2184
	global_store_b32 v[2:3], v9, off offset:728
	;; [unrolled: 1-line block ×8, first 2 shown]
.LBB0_33:
	s_nop 0
	s_sendmsg sendmsg(MSG_DEALLOC_VGPRS)
	s_endpgm
	.section	.rodata,"a",@progbits
	.p2align	6, 0x0
	.amdhsa_kernel fft_rtc_back_len1638_factors_13_2_3_7_3_wgs_182_tpt_182_halfLds_half_op_CI_CI_unitstride_sbrr_dirReg
		.amdhsa_group_segment_fixed_size 0
		.amdhsa_private_segment_fixed_size 0
		.amdhsa_kernarg_size 104
		.amdhsa_user_sgpr_count 2
		.amdhsa_user_sgpr_dispatch_ptr 0
		.amdhsa_user_sgpr_queue_ptr 0
		.amdhsa_user_sgpr_kernarg_segment_ptr 1
		.amdhsa_user_sgpr_dispatch_id 0
		.amdhsa_user_sgpr_private_segment_size 0
		.amdhsa_wavefront_size32 1
		.amdhsa_uses_dynamic_stack 0
		.amdhsa_enable_private_segment 0
		.amdhsa_system_sgpr_workgroup_id_x 1
		.amdhsa_system_sgpr_workgroup_id_y 0
		.amdhsa_system_sgpr_workgroup_id_z 0
		.amdhsa_system_sgpr_workgroup_info 0
		.amdhsa_system_vgpr_workitem_id 0
		.amdhsa_next_free_vgpr 85
		.amdhsa_next_free_sgpr 39
		.amdhsa_reserve_vcc 1
		.amdhsa_float_round_mode_32 0
		.amdhsa_float_round_mode_16_64 0
		.amdhsa_float_denorm_mode_32 3
		.amdhsa_float_denorm_mode_16_64 3
		.amdhsa_fp16_overflow 0
		.amdhsa_workgroup_processor_mode 1
		.amdhsa_memory_ordered 1
		.amdhsa_forward_progress 0
		.amdhsa_round_robin_scheduling 0
		.amdhsa_exception_fp_ieee_invalid_op 0
		.amdhsa_exception_fp_denorm_src 0
		.amdhsa_exception_fp_ieee_div_zero 0
		.amdhsa_exception_fp_ieee_overflow 0
		.amdhsa_exception_fp_ieee_underflow 0
		.amdhsa_exception_fp_ieee_inexact 0
		.amdhsa_exception_int_div_zero 0
	.end_amdhsa_kernel
	.text
.Lfunc_end0:
	.size	fft_rtc_back_len1638_factors_13_2_3_7_3_wgs_182_tpt_182_halfLds_half_op_CI_CI_unitstride_sbrr_dirReg, .Lfunc_end0-fft_rtc_back_len1638_factors_13_2_3_7_3_wgs_182_tpt_182_halfLds_half_op_CI_CI_unitstride_sbrr_dirReg
                                        ; -- End function
	.section	.AMDGPU.csdata,"",@progbits
; Kernel info:
; codeLenInByte = 10460
; NumSgprs: 41
; NumVgprs: 85
; ScratchSize: 0
; MemoryBound: 0
; FloatMode: 240
; IeeeMode: 1
; LDSByteSize: 0 bytes/workgroup (compile time only)
; SGPRBlocks: 5
; VGPRBlocks: 10
; NumSGPRsForWavesPerEU: 41
; NumVGPRsForWavesPerEU: 85
; Occupancy: 15
; WaveLimiterHint : 1
; COMPUTE_PGM_RSRC2:SCRATCH_EN: 0
; COMPUTE_PGM_RSRC2:USER_SGPR: 2
; COMPUTE_PGM_RSRC2:TRAP_HANDLER: 0
; COMPUTE_PGM_RSRC2:TGID_X_EN: 1
; COMPUTE_PGM_RSRC2:TGID_Y_EN: 0
; COMPUTE_PGM_RSRC2:TGID_Z_EN: 0
; COMPUTE_PGM_RSRC2:TIDIG_COMP_CNT: 0
	.text
	.p2alignl 7, 3214868480
	.fill 96, 4, 3214868480
	.type	__hip_cuid_ddb4e4b3bbbd4cd6,@object ; @__hip_cuid_ddb4e4b3bbbd4cd6
	.section	.bss,"aw",@nobits
	.globl	__hip_cuid_ddb4e4b3bbbd4cd6
__hip_cuid_ddb4e4b3bbbd4cd6:
	.byte	0                               ; 0x0
	.size	__hip_cuid_ddb4e4b3bbbd4cd6, 1

	.ident	"AMD clang version 19.0.0git (https://github.com/RadeonOpenCompute/llvm-project roc-6.4.0 25133 c7fe45cf4b819c5991fe208aaa96edf142730f1d)"
	.section	".note.GNU-stack","",@progbits
	.addrsig
	.addrsig_sym __hip_cuid_ddb4e4b3bbbd4cd6
	.amdgpu_metadata
---
amdhsa.kernels:
  - .args:
      - .actual_access:  read_only
        .address_space:  global
        .offset:         0
        .size:           8
        .value_kind:     global_buffer
      - .offset:         8
        .size:           8
        .value_kind:     by_value
      - .actual_access:  read_only
        .address_space:  global
        .offset:         16
        .size:           8
        .value_kind:     global_buffer
      - .actual_access:  read_only
        .address_space:  global
        .offset:         24
        .size:           8
        .value_kind:     global_buffer
      - .actual_access:  read_only
        .address_space:  global
        .offset:         32
        .size:           8
        .value_kind:     global_buffer
      - .offset:         40
        .size:           8
        .value_kind:     by_value
      - .actual_access:  read_only
        .address_space:  global
        .offset:         48
        .size:           8
        .value_kind:     global_buffer
      - .actual_access:  read_only
        .address_space:  global
        .offset:         56
        .size:           8
        .value_kind:     global_buffer
      - .offset:         64
        .size:           4
        .value_kind:     by_value
      - .actual_access:  read_only
        .address_space:  global
        .offset:         72
        .size:           8
        .value_kind:     global_buffer
      - .actual_access:  read_only
        .address_space:  global
        .offset:         80
        .size:           8
        .value_kind:     global_buffer
      - .actual_access:  read_only
        .address_space:  global
        .offset:         88
        .size:           8
        .value_kind:     global_buffer
      - .actual_access:  write_only
        .address_space:  global
        .offset:         96
        .size:           8
        .value_kind:     global_buffer
    .group_segment_fixed_size: 0
    .kernarg_segment_align: 8
    .kernarg_segment_size: 104
    .language:       OpenCL C
    .language_version:
      - 2
      - 0
    .max_flat_workgroup_size: 182
    .name:           fft_rtc_back_len1638_factors_13_2_3_7_3_wgs_182_tpt_182_halfLds_half_op_CI_CI_unitstride_sbrr_dirReg
    .private_segment_fixed_size: 0
    .sgpr_count:     41
    .sgpr_spill_count: 0
    .symbol:         fft_rtc_back_len1638_factors_13_2_3_7_3_wgs_182_tpt_182_halfLds_half_op_CI_CI_unitstride_sbrr_dirReg.kd
    .uniform_work_group_size: 1
    .uses_dynamic_stack: false
    .vgpr_count:     85
    .vgpr_spill_count: 0
    .wavefront_size: 32
    .workgroup_processor_mode: 1
amdhsa.target:   amdgcn-amd-amdhsa--gfx1201
amdhsa.version:
  - 1
  - 2
...

	.end_amdgpu_metadata
